;; amdgpu-corpus repo=ROCm/rocFFT kind=compiled arch=gfx950 opt=O3
	.text
	.amdgcn_target "amdgcn-amd-amdhsa--gfx950"
	.amdhsa_code_object_version 6
	.protected	fft_rtc_fwd_len352_factors_11_2_16_wgs_64_tpt_32_half_op_CI_CI_unitstride_sbrr_C2R_dirReg ; -- Begin function fft_rtc_fwd_len352_factors_11_2_16_wgs_64_tpt_32_half_op_CI_CI_unitstride_sbrr_C2R_dirReg
	.globl	fft_rtc_fwd_len352_factors_11_2_16_wgs_64_tpt_32_half_op_CI_CI_unitstride_sbrr_C2R_dirReg
	.p2align	8
	.type	fft_rtc_fwd_len352_factors_11_2_16_wgs_64_tpt_32_half_op_CI_CI_unitstride_sbrr_C2R_dirReg,@function
fft_rtc_fwd_len352_factors_11_2_16_wgs_64_tpt_32_half_op_CI_CI_unitstride_sbrr_C2R_dirReg: ; @fft_rtc_fwd_len352_factors_11_2_16_wgs_64_tpt_32_half_op_CI_CI_unitstride_sbrr_C2R_dirReg
; %bb.0:
	s_load_dwordx4 s[4:7], s[0:1], 0x58
	s_load_dwordx4 s[8:11], s[0:1], 0x0
	;; [unrolled: 1-line block ×3, first 2 shown]
	v_lshrrev_b32_e32 v1, 5, v0
	v_lshl_or_b32 v6, s2, 1, v1
	v_mov_b32_e32 v4, 0
	s_waitcnt lgkmcnt(0)
	v_cmp_lt_u64_e64 s[2:3], s[10:11], 2
	v_mov_b32_e32 v7, v4
	s_and_b64 vcc, exec, s[2:3]
	v_mov_b64_e32 v[2:3], 0
	s_cbranch_vccnz .LBB0_8
; %bb.1:
	s_load_dwordx2 s[2:3], s[0:1], 0x10
	s_add_u32 s16, s14, 8
	s_addc_u32 s17, s15, 0
	s_add_u32 s18, s12, 8
	s_addc_u32 s19, s13, 0
	s_waitcnt lgkmcnt(0)
	s_add_u32 s20, s2, 8
	v_mov_b64_e32 v[2:3], 0
	s_addc_u32 s21, s3, 0
	s_mov_b64 s[22:23], 1
	v_mov_b64_e32 v[8:9], v[2:3]
.LBB0_2:                                ; =>This Inner Loop Header: Depth=1
	s_load_dwordx2 s[24:25], s[20:21], 0x0
                                        ; implicit-def: $vgpr10_vgpr11
	s_waitcnt lgkmcnt(0)
	v_or_b32_e32 v5, s25, v7
	v_cmp_ne_u64_e32 vcc, 0, v[4:5]
	s_and_saveexec_b64 s[2:3], vcc
	s_xor_b64 s[26:27], exec, s[2:3]
	s_cbranch_execz .LBB0_4
; %bb.3:                                ;   in Loop: Header=BB0_2 Depth=1
	v_cvt_f32_u32_e32 v1, s24
	v_cvt_f32_u32_e32 v5, s25
	s_sub_u32 s2, 0, s24
	s_subb_u32 s3, 0, s25
	v_fmac_f32_e32 v1, 0x4f800000, v5
	v_rcp_f32_e32 v1, v1
	s_nop 0
	v_mul_f32_e32 v1, 0x5f7ffffc, v1
	v_mul_f32_e32 v5, 0x2f800000, v1
	v_trunc_f32_e32 v5, v5
	v_fmac_f32_e32 v1, 0xcf800000, v5
	v_cvt_u32_f32_e32 v5, v5
	v_cvt_u32_f32_e32 v1, v1
	v_mul_lo_u32 v10, s2, v5
	v_mul_hi_u32 v12, s2, v1
	v_mul_lo_u32 v11, s3, v1
	v_add_u32_e32 v12, v12, v10
	v_mul_lo_u32 v14, s2, v1
	v_add_u32_e32 v15, v12, v11
	v_mul_hi_u32 v10, v1, v14
	v_mul_hi_u32 v13, v1, v15
	v_mul_lo_u32 v12, v1, v15
	v_mov_b32_e32 v11, v4
	v_lshl_add_u64 v[10:11], v[10:11], 0, v[12:13]
	v_mul_hi_u32 v13, v5, v14
	v_mul_lo_u32 v14, v5, v14
	v_add_co_u32_e32 v10, vcc, v10, v14
	v_mul_hi_u32 v12, v5, v15
	s_nop 0
	v_addc_co_u32_e32 v10, vcc, v11, v13, vcc
	v_mov_b32_e32 v11, v4
	s_nop 0
	v_addc_co_u32_e32 v13, vcc, 0, v12, vcc
	v_mul_lo_u32 v12, v5, v15
	v_lshl_add_u64 v[10:11], v[10:11], 0, v[12:13]
	v_add_co_u32_e32 v1, vcc, v1, v10
	v_mul_lo_u32 v12, s2, v1
	s_nop 0
	v_addc_co_u32_e32 v5, vcc, v5, v11, vcc
	v_mul_lo_u32 v10, s2, v5
	v_mul_hi_u32 v11, s2, v1
	v_add_u32_e32 v10, v11, v10
	v_mul_lo_u32 v11, s3, v1
	v_add_u32_e32 v14, v10, v11
	v_mul_hi_u32 v16, v5, v12
	v_mul_lo_u32 v17, v5, v12
	v_mul_hi_u32 v11, v1, v14
	v_mul_lo_u32 v10, v1, v14
	v_mul_hi_u32 v12, v1, v12
	v_mov_b32_e32 v13, v4
	v_lshl_add_u64 v[10:11], v[12:13], 0, v[10:11]
	v_add_co_u32_e32 v10, vcc, v10, v17
	v_mul_hi_u32 v15, v5, v14
	s_nop 0
	v_addc_co_u32_e32 v10, vcc, v11, v16, vcc
	v_mul_lo_u32 v12, v5, v14
	s_nop 0
	v_addc_co_u32_e32 v13, vcc, 0, v15, vcc
	v_mov_b32_e32 v11, v4
	v_lshl_add_u64 v[10:11], v[10:11], 0, v[12:13]
	v_add_co_u32_e32 v1, vcc, v1, v10
	v_mul_hi_u32 v12, v6, v1
	s_nop 0
	v_addc_co_u32_e32 v5, vcc, v5, v11, vcc
	v_mad_u64_u32 v[10:11], s[2:3], v6, v5, 0
	v_mov_b32_e32 v13, v4
	v_lshl_add_u64 v[10:11], v[12:13], 0, v[10:11]
	v_mad_u64_u32 v[14:15], s[2:3], v7, v1, 0
	v_add_co_u32_e32 v1, vcc, v10, v14
	v_mad_u64_u32 v[12:13], s[2:3], v7, v5, 0
	s_nop 0
	v_addc_co_u32_e32 v10, vcc, v11, v15, vcc
	v_mov_b32_e32 v11, v4
	s_nop 0
	v_addc_co_u32_e32 v13, vcc, 0, v13, vcc
	v_lshl_add_u64 v[10:11], v[10:11], 0, v[12:13]
	v_mul_lo_u32 v1, s25, v10
	v_mul_lo_u32 v5, s24, v11
	v_mad_u64_u32 v[12:13], s[2:3], s24, v10, 0
	v_add3_u32 v1, v13, v5, v1
	v_sub_u32_e32 v5, v7, v1
	v_mov_b32_e32 v13, s25
	v_sub_co_u32_e32 v16, vcc, v6, v12
	v_lshl_add_u64 v[14:15], v[10:11], 0, 1
	s_nop 0
	v_subb_co_u32_e64 v5, s[2:3], v5, v13, vcc
	v_subrev_co_u32_e64 v12, s[2:3], s24, v16
	v_subb_co_u32_e32 v1, vcc, v7, v1, vcc
	s_nop 0
	v_subbrev_co_u32_e64 v5, s[2:3], 0, v5, s[2:3]
	v_cmp_le_u32_e64 s[2:3], s25, v5
	v_cmp_le_u32_e32 vcc, s25, v1
	s_nop 0
	v_cndmask_b32_e64 v13, 0, -1, s[2:3]
	v_cmp_le_u32_e64 s[2:3], s24, v12
	s_nop 1
	v_cndmask_b32_e64 v12, 0, -1, s[2:3]
	v_cmp_eq_u32_e64 s[2:3], s25, v5
	s_nop 1
	v_cndmask_b32_e64 v5, v13, v12, s[2:3]
	v_lshl_add_u64 v[12:13], v[10:11], 0, 2
	v_cmp_ne_u32_e64 s[2:3], 0, v5
	s_nop 1
	v_cndmask_b32_e64 v5, v15, v13, s[2:3]
	v_cndmask_b32_e64 v13, 0, -1, vcc
	v_cmp_le_u32_e32 vcc, s24, v16
	s_nop 1
	v_cndmask_b32_e64 v15, 0, -1, vcc
	v_cmp_eq_u32_e32 vcc, s25, v1
	s_nop 1
	v_cndmask_b32_e32 v1, v13, v15, vcc
	v_cmp_ne_u32_e32 vcc, 0, v1
	v_cndmask_b32_e64 v1, v14, v12, s[2:3]
	s_nop 0
	v_cndmask_b32_e32 v11, v11, v5, vcc
	v_cndmask_b32_e32 v10, v10, v1, vcc
.LBB0_4:                                ;   in Loop: Header=BB0_2 Depth=1
	s_andn2_saveexec_b64 s[2:3], s[26:27]
	s_cbranch_execz .LBB0_6
; %bb.5:                                ;   in Loop: Header=BB0_2 Depth=1
	v_cvt_f32_u32_e32 v1, s24
	s_sub_i32 s26, 0, s24
	v_rcp_iflag_f32_e32 v1, v1
	s_nop 0
	v_mul_f32_e32 v1, 0x4f7ffffe, v1
	v_cvt_u32_f32_e32 v1, v1
	v_mul_lo_u32 v5, s26, v1
	v_mul_hi_u32 v5, v1, v5
	v_add_u32_e32 v1, v1, v5
	v_mul_hi_u32 v1, v6, v1
	v_mul_lo_u32 v5, v1, s24
	v_sub_u32_e32 v5, v6, v5
	v_add_u32_e32 v10, 1, v1
	v_subrev_u32_e32 v11, s24, v5
	v_cmp_le_u32_e32 vcc, s24, v5
	s_nop 1
	v_cndmask_b32_e32 v5, v5, v11, vcc
	v_cndmask_b32_e32 v1, v1, v10, vcc
	v_add_u32_e32 v10, 1, v1
	v_cmp_le_u32_e32 vcc, s24, v5
	v_mov_b32_e32 v11, v4
	s_nop 0
	v_cndmask_b32_e32 v10, v1, v10, vcc
.LBB0_6:                                ;   in Loop: Header=BB0_2 Depth=1
	s_or_b64 exec, exec, s[2:3]
	v_mad_u64_u32 v[12:13], s[2:3], v10, s24, 0
	s_load_dwordx2 s[2:3], s[18:19], 0x0
	v_mul_lo_u32 v1, v11, s24
	v_mul_lo_u32 v5, v10, s25
	s_load_dwordx2 s[24:25], s[16:17], 0x0
	s_add_u32 s22, s22, 1
	v_add3_u32 v1, v13, v5, v1
	v_sub_co_u32_e32 v5, vcc, v6, v12
	s_addc_u32 s23, s23, 0
	s_nop 0
	v_subb_co_u32_e32 v1, vcc, v7, v1, vcc
	s_add_u32 s16, s16, 8
	s_waitcnt lgkmcnt(0)
	v_mul_lo_u32 v6, s2, v1
	v_mul_lo_u32 v7, s3, v5
	v_mad_u64_u32 v[2:3], s[2:3], s2, v5, v[2:3]
	s_addc_u32 s17, s17, 0
	v_add3_u32 v3, v7, v3, v6
	v_mul_lo_u32 v1, s24, v1
	v_mul_lo_u32 v6, s25, v5
	v_mad_u64_u32 v[8:9], s[2:3], s24, v5, v[8:9]
	s_add_u32 s18, s18, 8
	v_add3_u32 v9, v6, v9, v1
	s_addc_u32 s19, s19, 0
	v_mov_b64_e32 v[6:7], s[10:11]
	s_add_u32 s20, s20, 8
	v_cmp_ge_u64_e32 vcc, s[22:23], v[6:7]
	s_addc_u32 s21, s21, 0
	s_cbranch_vccnz .LBB0_9
; %bb.7:                                ;   in Loop: Header=BB0_2 Depth=1
	v_mov_b64_e32 v[6:7], v[10:11]
	s_branch .LBB0_2
.LBB0_8:
	v_mov_b64_e32 v[8:9], v[2:3]
	v_mov_b64_e32 v[10:11], v[6:7]
.LBB0_9:
	s_load_dwordx2 s[2:3], s[0:1], 0x28
	s_lshl_b64 s[16:17], s[10:11], 3
	s_add_u32 s14, s14, s16
	v_and_b32_e32 v1, 32, v0
	s_addc_u32 s15, s15, s17
	v_cmp_ne_u32_e64 s[0:1], 0, v1
	v_mov_b32_e32 v1, 0x161
	s_waitcnt lgkmcnt(0)
	v_cmp_gt_u64_e32 vcc, s[2:3], v[10:11]
	v_cmp_le_u64_e64 s[2:3], s[2:3], v[10:11]
	v_and_b32_e32 v12, 31, v0
	s_and_saveexec_b64 s[10:11], s[2:3]
	s_xor_b64 s[2:3], exec, s[10:11]
; %bb.10:
	v_and_b32_e32 v12, 31, v0
                                        ; implicit-def: $vgpr2_vgpr3
; %bb.11:
	s_or_saveexec_b64 s[10:11], s[2:3]
	s_load_dwordx2 s[2:3], s[14:15], 0x0
	v_cndmask_b32_e64 v4, 0, v1, s[0:1]
	v_lshlrev_b32_e32 v21, 2, v4
	s_xor_b64 exec, exec, s[10:11]
	s_cbranch_execz .LBB0_15
; %bb.12:
	s_add_u32 s0, s12, s16
	s_addc_u32 s1, s13, s17
	s_load_dwordx2 s[0:1], s[0:1], 0x0
	v_lshlrev_b32_e32 v6, 2, v12
	s_waitcnt lgkmcnt(0)
	v_mul_lo_u32 v5, s1, v10
	v_mul_lo_u32 v7, s0, v11
	v_mad_u64_u32 v[0:1], s[0:1], s0, v10, 0
	v_add3_u32 v1, v1, v7, v5
	v_lshl_add_u64 v[0:1], v[0:1], 2, s[4:5]
	v_lshl_add_u64 v[0:1], v[2:3], 2, v[0:1]
	v_mov_b32_e32 v7, 0
	v_lshl_add_u64 v[2:3], v[0:1], 0, v[6:7]
	global_load_dword v5, v[2:3], off
	global_load_dword v7, v[2:3], off offset:128
	global_load_dword v13, v[2:3], off offset:256
	global_load_dword v14, v[2:3], off offset:384
	global_load_dword v15, v[2:3], off offset:512
	global_load_dword v16, v[2:3], off offset:640
	global_load_dword v17, v[2:3], off offset:768
	global_load_dword v18, v[2:3], off offset:896
	global_load_dword v19, v[2:3], off offset:1024
	global_load_dword v20, v[2:3], off offset:1152
	global_load_dword v22, v[2:3], off offset:1280
	v_add3_u32 v2, 0, v21, v6
	v_cmp_eq_u32_e64 s[0:1], 31, v12
	v_add_u32_e32 v3, 0x400, v2
	s_waitcnt vmcnt(9)
	ds_write2_b32 v2, v5, v7 offset1:32
	s_waitcnt vmcnt(7)
	ds_write2_b32 v2, v13, v14 offset0:64 offset1:96
	s_waitcnt vmcnt(5)
	ds_write2_b32 v2, v15, v16 offset0:128 offset1:160
	;; [unrolled: 2-line block ×3, first 2 shown]
	s_waitcnt vmcnt(1)
	ds_write2_b32 v3, v19, v20 offset1:32
	s_waitcnt vmcnt(0)
	ds_write_b32 v2, v22 offset:1280
	s_and_saveexec_b64 s[4:5], s[0:1]
	s_cbranch_execz .LBB0_14
; %bb.13:
	global_load_dword v0, v[0:1], off offset:1408
	v_mov_b32_e32 v12, 31
	s_waitcnt vmcnt(0)
	ds_write_b32 v2, v0 offset:1284
.LBB0_14:
	s_or_b64 exec, exec, s[4:5]
.LBB0_15:
	s_or_b64 exec, exec, s[10:11]
	v_lshl_add_u32 v28, v4, 2, 0
	v_lshlrev_b32_e32 v2, 2, v12
	v_add_u32_e32 v29, v28, v2
	s_waitcnt lgkmcnt(0)
	; wave barrier
	s_waitcnt lgkmcnt(0)
	v_sub_u32_e32 v3, v28, v2
	ds_read_u16 v6, v29
	ds_read_u16 v7, v3 offset:1408
	v_cmp_ne_u32_e64 s[0:1], 0, v12
                                        ; implicit-def: $vgpr0_vgpr1
	s_waitcnt lgkmcnt(0)
	v_add_f16_e32 v4, v7, v6
	v_sub_f16_e32 v5, v6, v7
	s_and_saveexec_b64 s[4:5], s[0:1]
	s_xor_b64 s[0:1], exec, s[4:5]
	s_cbranch_execz .LBB0_17
; %bb.16:
	v_mov_b32_e32 v13, 0
	v_lshl_add_u64 v[0:1], v[12:13], 2, s[8:9]
	global_load_dword v0, v[0:1], off offset:1364
	ds_read_u16 v1, v3 offset:1410
	ds_read_u16 v4, v29 offset:2
	v_add_f16_e32 v5, v7, v6
	v_sub_f16_e32 v6, v6, v7
	s_waitcnt lgkmcnt(0)
	v_add_f16_e32 v7, v1, v4
	v_sub_f16_e32 v1, v4, v1
	s_waitcnt vmcnt(0)
	v_lshrrev_b32_e32 v4, 16, v0
	v_fma_f16 v14, v6, v4, v5
	v_fma_f16 v15, v7, v4, v1
	v_fma_f16 v16, -v6, v4, v5
	v_fma_f16 v1, v7, v4, -v1
	v_fma_f16 v4, -v0, v7, v14
	v_fma_f16 v5, v6, v0, v15
	v_fma_f16 v7, v0, v7, v16
	;; [unrolled: 1-line block ×3, first 2 shown]
	v_pack_b32_f16 v0, v7, v0
	ds_write_b32 v3, v0 offset:1408
	v_mov_b64_e32 v[0:1], v[12:13]
.LBB0_17:
	s_andn2_saveexec_b64 s[0:1], s[0:1]
	s_cbranch_execz .LBB0_19
; %bb.18:
	ds_read_b32 v0, v28 offset:704
	s_mov_b32 s4, 0xc0004000
	s_waitcnt lgkmcnt(0)
	v_pk_mul_f16 v0, v0, s4
	ds_write_b32 v28, v0 offset:704
	v_mov_b64_e32 v[0:1], 0
.LBB0_19:
	s_or_b64 exec, exec, s[0:1]
	s_add_u32 s0, s8, 0x554
	s_addc_u32 s1, s9, 0
	v_lshl_add_u64 v[0:1], v[0:1], 2, s[0:1]
	global_load_dword v6, v[0:1], off offset:128
	global_load_dword v7, v[0:1], off offset:256
	;; [unrolled: 1-line block ×4, first 2 shown]
	s_mov_b32 s0, 0x5040100
	v_perm_b32 v4, v5, v4, s0
	ds_write_b32 v29, v4
	ds_read_b32 v4, v29 offset:128
	ds_read_b32 v5, v3 offset:1280
	s_movk_i32 s0, 0xb0
	s_waitcnt lgkmcnt(0)
	v_add_f16_e32 v15, v4, v5
	v_add_f16_sdwa v16, v5, v4 dst_sel:DWORD dst_unused:UNUSED_PAD src0_sel:WORD_1 src1_sel:WORD_1
	v_sub_f16_e32 v17, v4, v5
	v_sub_f16_sdwa v4, v4, v5 dst_sel:DWORD dst_unused:UNUSED_PAD src0_sel:WORD_1 src1_sel:WORD_1
	s_waitcnt vmcnt(3)
	v_lshrrev_b32_e32 v5, 16, v6
	v_fma_f16 v18, v17, v5, v15
	v_fma_f16 v19, v16, v5, v4
	v_fma_f16 v15, -v17, v5, v15
	v_fma_f16 v4, v16, v5, -v4
	v_fma_f16 v5, -v6, v16, v18
	v_fma_f16 v18, v17, v6, v19
	v_fma_f16 v15, v6, v16, v15
	;; [unrolled: 1-line block ×3, first 2 shown]
	v_pack_b32_f16 v5, v5, v18
	v_pack_b32_f16 v4, v15, v4
	ds_write_b32 v29, v5 offset:128
	ds_write_b32 v3, v4 offset:1280
	ds_read_b32 v4, v29 offset:256
	ds_read_b32 v5, v3 offset:1152
	s_waitcnt vmcnt(2)
	v_lshrrev_b32_e32 v6, 16, v7
	s_waitcnt lgkmcnt(0)
	v_add_f16_e32 v15, v4, v5
	v_add_f16_sdwa v16, v5, v4 dst_sel:DWORD dst_unused:UNUSED_PAD src0_sel:WORD_1 src1_sel:WORD_1
	v_sub_f16_e32 v17, v4, v5
	v_sub_f16_sdwa v4, v4, v5 dst_sel:DWORD dst_unused:UNUSED_PAD src0_sel:WORD_1 src1_sel:WORD_1
	v_fma_f16 v5, v17, v6, v15
	v_fma_f16 v18, v16, v6, v4
	v_fma_f16 v15, -v17, v6, v15
	v_fma_f16 v4, v16, v6, -v4
	v_fma_f16 v5, -v7, v16, v5
	v_fma_f16 v6, v17, v7, v18
	v_fma_f16 v15, v7, v16, v15
	;; [unrolled: 1-line block ×3, first 2 shown]
	v_pack_b32_f16 v5, v5, v6
	v_pack_b32_f16 v4, v15, v4
	ds_write_b32 v29, v5 offset:256
	ds_write_b32 v3, v4 offset:1152
	ds_read_b32 v4, v29 offset:384
	ds_read_b32 v5, v3 offset:1024
	s_waitcnt vmcnt(1)
	v_lshrrev_b32_e32 v6, 16, v13
	s_waitcnt lgkmcnt(0)
	v_add_f16_e32 v7, v4, v5
	v_add_f16_sdwa v15, v5, v4 dst_sel:DWORD dst_unused:UNUSED_PAD src0_sel:WORD_1 src1_sel:WORD_1
	v_sub_f16_e32 v16, v4, v5
	v_sub_f16_sdwa v4, v4, v5 dst_sel:DWORD dst_unused:UNUSED_PAD src0_sel:WORD_1 src1_sel:WORD_1
	v_fma_f16 v5, v16, v6, v7
	v_fma_f16 v17, v15, v6, v4
	v_fma_f16 v7, -v16, v6, v7
	v_fma_f16 v4, v15, v6, -v4
	v_fma_f16 v5, -v13, v15, v5
	v_fma_f16 v6, v16, v13, v17
	v_fma_f16 v7, v13, v15, v7
	;; [unrolled: 1-line block ×3, first 2 shown]
	v_pack_b32_f16 v5, v5, v6
	v_pack_b32_f16 v4, v7, v4
	ds_write_b32 v29, v5 offset:384
	ds_write_b32 v3, v4 offset:1024
	ds_read_b32 v4, v29 offset:512
	ds_read_b32 v5, v3 offset:896
	s_waitcnt vmcnt(0)
	v_lshrrev_b32_e32 v6, 16, v14
	v_or_b32_e32 v16, 0xa0, v12
	v_cmp_gt_u32_e64 s[0:1], s0, v16
	s_waitcnt lgkmcnt(0)
	v_add_f16_e32 v7, v4, v5
	v_add_f16_sdwa v13, v5, v4 dst_sel:DWORD dst_unused:UNUSED_PAD src0_sel:WORD_1 src1_sel:WORD_1
	v_sub_f16_e32 v15, v4, v5
	v_sub_f16_sdwa v4, v4, v5 dst_sel:DWORD dst_unused:UNUSED_PAD src0_sel:WORD_1 src1_sel:WORD_1
	v_fma_f16 v5, v15, v6, v7
	v_fma_f16 v17, v13, v6, v4
	v_fma_f16 v7, -v15, v6, v7
	v_fma_f16 v4, v13, v6, -v4
	v_fma_f16 v5, -v14, v13, v5
	v_fma_f16 v6, v15, v14, v17
	v_fma_f16 v7, v14, v13, v7
	;; [unrolled: 1-line block ×3, first 2 shown]
	v_pack_b32_f16 v5, v5, v6
	v_pack_b32_f16 v4, v7, v4
	ds_write_b32 v29, v5 offset:512
	ds_write_b32 v3, v4 offset:896
	s_and_saveexec_b64 s[4:5], s[0:1]
	s_cbranch_execz .LBB0_21
; %bb.20:
	global_load_dword v0, v[0:1], off offset:640
	ds_read_b32 v1, v29 offset:640
	ds_read_b32 v4, v3 offset:768
	s_waitcnt lgkmcnt(0)
	v_add_f16_e32 v5, v1, v4
	v_add_f16_sdwa v6, v4, v1 dst_sel:DWORD dst_unused:UNUSED_PAD src0_sel:WORD_1 src1_sel:WORD_1
	v_sub_f16_e32 v7, v1, v4
	v_sub_f16_sdwa v1, v1, v4 dst_sel:DWORD dst_unused:UNUSED_PAD src0_sel:WORD_1 src1_sel:WORD_1
	s_waitcnt vmcnt(0)
	v_lshrrev_b32_e32 v4, 16, v0
	v_fma_f16 v13, v7, v4, v5
	v_fma_f16 v14, v6, v4, v1
	v_fma_f16 v5, -v7, v4, v5
	v_fma_f16 v1, v6, v4, -v1
	v_fma_f16 v4, -v0, v6, v13
	v_fma_f16 v13, v7, v0, v14
	v_fma_f16 v5, v0, v6, v5
	v_fma_f16 v0, v7, v0, v1
	v_pack_b32_f16 v1, v4, v13
	v_pack_b32_f16 v0, v5, v0
	ds_write_b32 v29, v1 offset:640
	ds_write_b32 v3, v0 offset:768
.LBB0_21:
	s_or_b64 exec, exec, s[4:5]
	s_waitcnt lgkmcnt(0)
	; wave barrier
	s_waitcnt lgkmcnt(0)
	s_waitcnt lgkmcnt(0)
	; wave barrier
	s_waitcnt lgkmcnt(0)
	ds_read_b32 v0, v29
	v_add3_u32 v13, 0, v2, v21
	ds_read2_b32 v[2:3], v13 offset0:32 offset1:64
	ds_read2_b32 v[4:5], v13 offset0:96 offset1:128
	;; [unrolled: 1-line block ×3, first 2 shown]
	v_add_u32_e32 v17, 0x400, v13
	v_add_u32_e32 v1, 0x200, v13
	ds_read2_b32 v[18:19], v17 offset0:32 offset1:64
	s_waitcnt lgkmcnt(3)
	v_add_f16_e32 v17, v0, v2
	v_add_f16_sdwa v20, v0, v2 dst_sel:DWORD dst_unused:UNUSED_PAD src0_sel:WORD_1 src1_sel:WORD_1
	ds_read2_b32 v[14:15], v1 offset0:96 offset1:128
	v_add_f16_e32 v17, v17, v3
	v_add_f16_sdwa v20, v20, v3 dst_sel:DWORD dst_unused:UNUSED_PAD src0_sel:DWORD src1_sel:WORD_1
	s_waitcnt lgkmcnt(3)
	v_add_f16_e32 v17, v17, v4
	v_add_f16_sdwa v20, v20, v4 dst_sel:DWORD dst_unused:UNUSED_PAD src0_sel:DWORD src1_sel:WORD_1
	v_add_f16_e32 v17, v17, v5
	v_add_f16_sdwa v20, v20, v5 dst_sel:DWORD dst_unused:UNUSED_PAD src0_sel:DWORD src1_sel:WORD_1
	s_waitcnt lgkmcnt(2)
	v_add_f16_e32 v17, v17, v6
	v_add_f16_sdwa v20, v20, v6 dst_sel:DWORD dst_unused:UNUSED_PAD src0_sel:DWORD src1_sel:WORD_1
	;; [unrolled: 5-line block ×3, first 2 shown]
	v_add_f16_e32 v17, v17, v15
	v_add_f16_sdwa v20, v20, v15 dst_sel:DWORD dst_unused:UNUSED_PAD src0_sel:DWORD src1_sel:WORD_1
	v_add_f16_e32 v17, v17, v18
	v_add_f16_sdwa v20, v20, v18 dst_sel:DWORD dst_unused:UNUSED_PAD src0_sel:DWORD src1_sel:WORD_1
	v_add_f16_e32 v22, v19, v2
	v_add_f16_sdwa v23, v19, v2 dst_sel:DWORD dst_unused:UNUSED_PAD src0_sel:WORD_1 src1_sel:WORD_1
	v_sub_f16_e32 v24, v2, v19
	v_sub_f16_sdwa v2, v2, v19 dst_sel:DWORD dst_unused:UNUSED_PAD src0_sel:WORD_1 src1_sel:WORD_1
	v_add_f16_e32 v17, v17, v19
	v_add_f16_sdwa v20, v20, v19 dst_sel:DWORD dst_unused:UNUSED_PAD src0_sel:DWORD src1_sel:WORD_1
	v_mul_f16_e32 v19, 0xb853, v2
	s_movk_i32 s4, 0x3abb
	v_mul_f16_e32 v26, 0xb853, v24
	v_mul_f16_e32 v30, 0xbb47, v2
	s_movk_i32 s0, 0x36a6
	v_mul_f16_e32 v32, 0xbb47, v24
	v_mul_f16_e32 v34, 0xbbeb, v2
	s_mov_b32 s1, 0xb08e
	v_mul_f16_e32 v36, 0xbbeb, v24
	v_mul_f16_e32 v38, 0xba0c, v2
	s_mov_b32 s5, 0xb93d
	;; [unrolled: 3-line block ×3, first 2 shown]
	v_mul_f16_e32 v24, 0xb482, v24
	v_fma_f16 v25, v22, s4, -v19
	v_fma_f16 v27, v23, s4, v26
	v_fma_f16 v19, v22, s4, v19
	v_fma_f16 v26, v23, s4, -v26
	v_fma_f16 v31, v22, s0, -v30
	v_fma_f16 v33, v23, s0, v32
	v_fma_f16 v30, v22, s0, v30
	v_fma_f16 v32, v23, s0, -v32
	;; [unrolled: 4-line block ×5, first 2 shown]
	v_add_f16_e32 v25, v0, v25
	v_add_f16_sdwa v27, v0, v27 dst_sel:DWORD dst_unused:UNUSED_PAD src0_sel:WORD_1 src1_sel:DWORD
	v_add_f16_e32 v19, v0, v19
	v_add_f16_sdwa v26, v0, v26 dst_sel:DWORD dst_unused:UNUSED_PAD src0_sel:WORD_1 src1_sel:DWORD
	;; [unrolled: 2-line block ×10, first 2 shown]
	v_add_f16_e32 v22, v18, v3
	v_add_f16_sdwa v23, v18, v3 dst_sel:DWORD dst_unused:UNUSED_PAD src0_sel:WORD_1 src1_sel:WORD_1
	v_sub_f16_e32 v24, v3, v18
	v_sub_f16_sdwa v3, v3, v18 dst_sel:DWORD dst_unused:UNUSED_PAD src0_sel:WORD_1 src1_sel:WORD_1
	v_mul_f16_e32 v18, 0xbb47, v3
	v_fma_f16 v44, v22, s0, -v18
	v_add_f16_e32 v25, v44, v25
	v_mul_f16_e32 v44, 0xbb47, v24
	v_fma_f16 v18, v22, s0, v18
	v_add_f16_e32 v18, v18, v19
	v_fma_f16 v19, v23, s0, -v44
	v_add_f16_e32 v19, v19, v26
	v_mul_f16_e32 v26, 0xba0c, v3
	v_fma_f16 v45, v23, s0, v44
	v_fma_f16 v44, v22, s5, -v26
	v_add_f16_e32 v31, v44, v31
	v_mul_f16_e32 v44, 0xba0c, v24
	v_fma_f16 v26, v22, s5, v26
	v_add_f16_e32 v26, v26, v30
	v_fma_f16 v30, v23, s5, -v44
	v_add_f16_e32 v30, v30, v32
	v_mul_f16_e32 v32, 0x3482, v3
	v_add_f16_e32 v27, v45, v27
	v_fma_f16 v45, v23, s5, v44
	v_fma_f16 v44, v22, s10, -v32
	v_add_f16_e32 v35, v44, v35
	v_mul_f16_e32 v44, 0x3482, v24
	v_fma_f16 v32, v22, s10, v32
	v_add_f16_e32 v32, v32, v34
	v_fma_f16 v34, v23, s10, -v44
	v_add_f16_e32 v34, v34, v36
	v_mul_f16_e32 v36, 0x3beb, v3
	v_add_f16_e32 v33, v45, v33
	v_fma_f16 v45, v23, s10, v44
	v_fma_f16 v44, v22, s1, -v36
	v_add_f16_e32 v39, v44, v39
	v_mul_f16_e32 v44, 0x3beb, v24
	v_fma_f16 v36, v22, s1, v36
	v_add_f16_e32 v36, v36, v38
	v_fma_f16 v38, v23, s1, -v44
	v_mul_f16_e32 v3, 0x3853, v3
	v_add_f16_e32 v38, v38, v40
	v_fma_f16 v40, v22, s4, -v3
	v_mul_f16_e32 v24, 0x3853, v24
	v_fma_f16 v3, v22, s4, v3
	v_add_f16_e32 v2, v3, v2
	v_fma_f16 v3, v23, s4, -v24
	v_add_f16_e32 v37, v45, v37
	v_fma_f16 v45, v23, s1, v44
	v_add_f16_e32 v40, v40, v42
	v_fma_f16 v42, v23, s4, v24
	v_add_f16_e32 v0, v3, v0
	v_add_f16_e32 v3, v15, v4
	v_add_f16_sdwa v22, v15, v4 dst_sel:DWORD dst_unused:UNUSED_PAD src0_sel:WORD_1 src1_sel:WORD_1
	v_sub_f16_e32 v23, v4, v15
	v_sub_f16_sdwa v4, v4, v15 dst_sel:DWORD dst_unused:UNUSED_PAD src0_sel:WORD_1 src1_sel:WORD_1
	v_mul_f16_e32 v15, 0xbbeb, v4
	v_fma_f16 v24, v3, s1, -v15
	v_add_f16_e32 v24, v24, v25
	v_mul_f16_e32 v25, 0xbbeb, v23
	v_fma_f16 v15, v3, s1, v15
	v_add_f16_e32 v15, v15, v18
	v_fma_f16 v18, v22, s1, -v25
	v_add_f16_e32 v18, v18, v19
	v_mul_f16_e32 v19, 0x3482, v4
	v_add_f16_e32 v42, v42, v43
	v_fma_f16 v43, v22, s1, v25
	v_fma_f16 v25, v3, s10, -v19
	v_add_f16_e32 v25, v25, v31
	v_mul_f16_e32 v31, 0x3482, v23
	v_fma_f16 v19, v3, s10, v19
	v_add_f16_e32 v19, v19, v26
	v_fma_f16 v26, v22, s10, -v31
	v_add_f16_e32 v26, v26, v30
	v_mul_f16_e32 v30, 0x3b47, v4
	v_add_f16_e32 v27, v43, v27
	v_fma_f16 v43, v22, s10, v31
	;; [unrolled: 10-line block ×3, first 2 shown]
	v_fma_f16 v35, v3, s4, -v34
	v_add_f16_e32 v35, v35, v39
	v_mul_f16_e32 v39, 0xb853, v23
	v_fma_f16 v34, v3, s4, v34
	v_add_f16_e32 v34, v34, v36
	v_fma_f16 v36, v22, s4, -v39
	v_mul_f16_e32 v4, 0xba0c, v4
	v_add_f16_e32 v36, v36, v38
	v_fma_f16 v38, v3, s5, -v4
	v_mul_f16_e32 v23, 0xba0c, v23
	v_fma_f16 v3, v3, s5, v4
	v_add_f16_e32 v2, v3, v2
	v_fma_f16 v3, v22, s5, -v23
	v_add_f16_e32 v37, v43, v37
	v_fma_f16 v43, v22, s4, v39
	v_fma_f16 v39, v22, s5, v23
	v_add_f16_e32 v0, v3, v0
	v_add_f16_e32 v3, v14, v5
	v_add_f16_sdwa v4, v14, v5 dst_sel:DWORD dst_unused:UNUSED_PAD src0_sel:WORD_1 src1_sel:WORD_1
	v_sub_f16_e32 v22, v5, v14
	v_sub_f16_sdwa v5, v5, v14 dst_sel:DWORD dst_unused:UNUSED_PAD src0_sel:WORD_1 src1_sel:WORD_1
	v_mul_f16_e32 v14, 0xba0c, v5
	v_fma_f16 v23, v3, s5, -v14
	v_add_f16_e32 v23, v23, v24
	v_mul_f16_e32 v24, 0xba0c, v22
	v_fma_f16 v14, v3, s5, v14
	v_add_f16_e32 v14, v14, v15
	v_fma_f16 v15, v4, s5, -v24
	v_add_f16_e32 v15, v15, v18
	v_mul_f16_e32 v18, 0x3beb, v5
	v_add_f16_e32 v38, v38, v40
	v_fma_f16 v40, v4, s5, v24
	v_fma_f16 v24, v3, s1, -v18
	v_add_f16_e32 v24, v24, v25
	v_mul_f16_e32 v25, 0x3beb, v22
	v_fma_f16 v18, v3, s1, v18
	v_add_f16_e32 v27, v40, v27
	v_fma_f16 v40, v4, s1, v25
	v_add_f16_e32 v18, v18, v19
	v_fma_f16 v19, v4, s1, -v25
	v_mul_f16_e32 v25, 0xb853, v5
	v_add_f16_e32 v19, v19, v26
	v_fma_f16 v26, v3, s4, -v25
	v_add_f16_e32 v31, v26, v31
	v_mul_f16_e32 v26, 0xb853, v22
	v_add_f16_e32 v33, v40, v33
	v_fma_f16 v40, v4, s4, v26
	v_fma_f16 v25, v3, s4, v25
	v_fma_f16 v26, v4, s4, -v26
	v_add_f16_e32 v25, v25, v30
	v_add_f16_e32 v30, v26, v32
	v_mul_f16_e32 v26, 0xb482, v5
	v_fma_f16 v32, v3, s10, -v26
	v_add_f16_e32 v32, v32, v35
	v_mul_f16_e32 v35, 0xb482, v22
	v_fma_f16 v26, v3, s10, v26
	v_add_f16_e32 v34, v26, v34
	v_fma_f16 v26, v4, s10, -v35
	v_mul_f16_e32 v5, 0x3b47, v5
	v_add_f16_e32 v37, v40, v37
	v_fma_f16 v40, v4, s10, v35
	v_add_f16_e32 v35, v26, v36
	v_fma_f16 v26, v3, s0, -v5
	v_mul_f16_e32 v22, 0x3b47, v22
	v_fma_f16 v3, v3, s0, v5
	v_add_f16_e32 v36, v26, v38
	v_fma_f16 v26, v4, s0, v22
	v_add_f16_e32 v2, v3, v2
	v_fma_f16 v3, v4, s0, -v22
	v_add_f16_e32 v4, v7, v6
	v_add_f16_sdwa v5, v7, v6 dst_sel:DWORD dst_unused:UNUSED_PAD src0_sel:WORD_1 src1_sel:WORD_1
	v_sub_f16_e32 v22, v6, v7
	v_sub_f16_sdwa v6, v6, v7 dst_sel:DWORD dst_unused:UNUSED_PAD src0_sel:WORD_1 src1_sel:WORD_1
	v_add_f16_e32 v3, v3, v0
	v_mul_f16_e32 v0, 0xb482, v6
	v_fma_f16 v7, v4, s10, -v0
	v_add_f16_e32 v39, v39, v42
	v_add_f16_e32 v7, v7, v23
	v_mul_f16_e32 v23, 0xb482, v22
	v_fma_f16 v0, v4, s10, v0
	v_add_f16_e32 v38, v26, v39
	v_fma_f16 v26, v5, s10, v23
	v_add_f16_e32 v0, v0, v14
	v_fma_f16 v14, v5, s10, -v23
	v_add_f16_e32 v27, v26, v27
	v_add_f16_e32 v26, v14, v15
	v_mul_f16_e32 v14, 0x3853, v6
	v_fma_f16 v15, v4, s4, -v14
	v_mul_f16_e32 v23, 0x3853, v22
	v_fma_f16 v14, v4, s4, v14
	v_add_f16_e32 v14, v14, v18
	v_fma_f16 v18, v5, s4, -v23
	v_add_f16_e32 v18, v18, v19
	v_mul_f16_e32 v19, 0xba0c, v6
	v_add_f16_e32 v15, v15, v24
	v_fma_f16 v24, v5, s4, v23
	v_fma_f16 v23, v4, s5, -v19
	v_add_f16_e32 v23, v23, v31
	v_mul_f16_e32 v31, 0xba0c, v22
	v_fma_f16 v19, v4, s5, v19
	v_add_f16_e32 v19, v19, v25
	v_fma_f16 v25, v5, s5, -v31
	v_add_f16_e32 v25, v25, v30
	v_mul_f16_e32 v30, 0x3b47, v6
	v_add_f16_e32 v24, v24, v33
	v_fma_f16 v33, v5, s5, v31
	v_fma_f16 v31, v4, s0, -v30
	v_fma_f16 v30, v4, s0, v30
	v_mul_f16_e32 v6, 0xbbeb, v6
	v_add_f16_e32 v41, v45, v41
	v_add_f16_e32 v31, v31, v32
	v_mul_f16_e32 v32, 0x3b47, v22
	v_add_f16_e32 v30, v30, v34
	v_fma_f16 v34, v4, s1, -v6
	v_mul_f16_e32 v22, 0xbbeb, v22
	v_fma_f16 v4, v4, s1, v6
	v_add_f16_e32 v41, v43, v41
	v_add_f16_e32 v33, v33, v37
	v_fma_f16 v37, v5, s0, v32
	v_fma_f16 v32, v5, s0, -v32
	v_add_f16_e32 v2, v4, v2
	v_fma_f16 v4, v5, s1, -v22
	v_add_f16_e32 v40, v40, v41
	v_add_f16_e32 v32, v32, v35
	v_fma_f16 v35, v5, s1, v22
	v_add_f16_e32 v3, v4, v3
	v_mad_u32_u24 v4, v12, 40, v13
	v_pack_b32_f16 v5, v7, v27
	v_pack_b32_f16 v6, v17, v20
	v_add_f16_e32 v37, v37, v40
	v_add_f16_e32 v34, v34, v36
	;; [unrolled: 1-line block ×3, first 2 shown]
	s_waitcnt lgkmcnt(0)
	; wave barrier
	ds_write2_b32 v4, v6, v5 offset1:1
	v_pack_b32_f16 v5, v23, v33
	v_pack_b32_f16 v6, v15, v24
	ds_write2_b32 v4, v6, v5 offset0:2 offset1:3
	v_pack_b32_f16 v5, v34, v35
	v_pack_b32_f16 v6, v31, v37
	ds_write2_b32 v4, v6, v5 offset0:4 offset1:5
	;; [unrolled: 3-line block ×4, first 2 shown]
	v_pack_b32_f16 v2, v0, v26
	ds_write_b32 v4, v2 offset:40
	s_waitcnt lgkmcnt(0)
	; wave barrier
	s_waitcnt lgkmcnt(0)
	ds_read2_b32 v[14:15], v13 offset0:176 offset1:208
	ds_read2_b32 v[6:7], v13 offset0:32 offset1:64
	;; [unrolled: 1-line block ×4, first 2 shown]
	ds_read_b32 v18, v29
	ds_read_b32 v17, v13 offset:1216
	v_cmp_gt_u32_e64 s[0:1], 16, v12
                                        ; implicit-def: $vgpr19
	s_and_saveexec_b64 s[4:5], s[0:1]
	s_cbranch_execz .LBB0_23
; %bb.22:
	ds_read2_b32 v[0:1], v1 offset0:32 offset1:208
	s_waitcnt lgkmcnt(0)
	v_lshrrev_b32_e32 v26, 16, v0
	v_alignbit_b32 v19, v1, v1, 16
.LBB0_23:
	s_or_b64 exec, exec, s[4:5]
	s_movk_i32 s5, 0x75
	v_mul_lo_u16_sdwa v1, v12, s5 dst_sel:DWORD dst_unused:UNUSED_PAD src0_sel:BYTE_0 src1_sel:DWORD
	v_sub_u16_sdwa v20, v12, v1 dst_sel:DWORD dst_unused:UNUSED_PAD src0_sel:DWORD src1_sel:BYTE_1
	v_lshrrev_b16_e32 v20, 1, v20
	v_and_b32_e32 v20, 0x7f, v20
	v_add_u16_sdwa v1, v20, v1 dst_sel:DWORD dst_unused:UNUSED_PAD src0_sel:DWORD src1_sel:BYTE_1
	v_lshrrev_b16_e32 v33, 3, v1
	s_movk_i32 s4, 0xff
	v_mul_lo_u16_e32 v1, 11, v33
	v_sub_u16_e32 v20, v12, v1
	v_bitop3_b16 v1, v12, s4, 32 bitop3:0xc8
	v_mul_lo_u16_e32 v1, 0x75, v1
	v_or_b32_e32 v22, 32, v12
	v_sub_u16_sdwa v23, v22, v1 dst_sel:DWORD dst_unused:UNUSED_PAD src0_sel:DWORD src1_sel:BYTE_1
	v_lshrrev_b16_e32 v23, 1, v23
	v_and_b32_e32 v23, 0x7f, v23
	v_add_u16_sdwa v1, v23, v1 dst_sel:DWORD dst_unused:UNUSED_PAD src0_sel:DWORD src1_sel:BYTE_1
	v_lshrrev_b16_e32 v34, 3, v1
	v_mul_lo_u16_e32 v1, 11, v34
	v_sub_u16_e32 v22, v22, v1
	v_bitop3_b16 v1, v12, s4, 64 bitop3:0xc8
	v_mul_lo_u16_e32 v1, 0x75, v1
	v_or_b32_e32 v23, 64, v12
	v_sub_u16_sdwa v24, v23, v1 dst_sel:DWORD dst_unused:UNUSED_PAD src0_sel:DWORD src1_sel:BYTE_1
	v_lshrrev_b16_e32 v24, 1, v24
	v_and_b32_e32 v24, 0x7f, v24
	v_add_u16_sdwa v1, v24, v1 dst_sel:DWORD dst_unused:UNUSED_PAD src0_sel:DWORD src1_sel:BYTE_1
	v_lshrrev_b16_e32 v35, 3, v1
	v_mul_lo_u16_e32 v1, 11, v35
	v_sub_u16_e32 v23, v23, v1
	v_mov_b32_e32 v1, 0x60
	v_bitop3_b16 v1, v12, s4, v1 bitop3:0xc8
	v_mul_lo_u16_e32 v24, 0x75, v1
	v_or_b32_e32 v25, 0x60, v12
	v_mul_lo_u16_sdwa v1, v16, s5 dst_sel:DWORD dst_unused:UNUSED_PAD src0_sel:BYTE_0 src1_sel:DWORD
	v_sub_u16_sdwa v31, v25, v24 dst_sel:DWORD dst_unused:UNUSED_PAD src0_sel:DWORD src1_sel:BYTE_1
	v_sub_u16_sdwa v27, v16, v1 dst_sel:DWORD dst_unused:UNUSED_PAD src0_sel:DWORD src1_sel:BYTE_1
	v_lshrrev_b16_e32 v31, 1, v31
	v_lshrrev_b16_e32 v27, 1, v27
	v_and_b32_e32 v31, 0x7f, v31
	v_and_b32_e32 v27, 0x7f, v27
	v_add_u16_sdwa v24, v31, v24 dst_sel:DWORD dst_unused:UNUSED_PAD src0_sel:DWORD src1_sel:BYTE_1
	v_add_u16_sdwa v1, v27, v1 dst_sel:DWORD dst_unused:UNUSED_PAD src0_sel:DWORD src1_sel:BYTE_1
	v_lshrrev_b16_e32 v39, 3, v24
	v_lshrrev_b16_e32 v1, 3, v1
	v_mul_lo_u16_e32 v24, 11, v39
	v_mul_lo_u16_e32 v27, 11, v1
	v_sub_u16_e32 v24, v25, v24
	v_mov_b32_e32 v25, 0x80
	v_sub_u16_e32 v16, v16, v27
	v_mov_b32_e32 v30, 2
	v_bitop3_b16 v25, v12, s4, v25 bitop3:0xc8
	v_lshlrev_b32_sdwa v27, v30, v16 dst_sel:DWORD dst_unused:UNUSED_PAD src0_sel:DWORD src1_sel:BYTE_0
	v_lshlrev_b32_sdwa v36, v30, v20 dst_sel:DWORD dst_unused:UNUSED_PAD src0_sel:DWORD src1_sel:BYTE_0
	v_mul_lo_u16_e32 v25, 0x75, v25
	v_or_b32_e32 v31, 0x80, v12
	global_load_dword v16, v27, s[8:9]
	global_load_dword v20, v36, s[8:9]
	v_lshlrev_b32_sdwa v37, v30, v22 dst_sel:DWORD dst_unused:UNUSED_PAD src0_sel:DWORD src1_sel:BYTE_0
	v_sub_u16_sdwa v32, v31, v25 dst_sel:DWORD dst_unused:UNUSED_PAD src0_sel:DWORD src1_sel:BYTE_1
	v_lshlrev_b32_sdwa v38, v30, v23 dst_sel:DWORD dst_unused:UNUSED_PAD src0_sel:DWORD src1_sel:BYTE_0
	global_load_dword v22, v37, s[8:9]
	global_load_dword v23, v38, s[8:9]
	v_lshrrev_b16_e32 v32, 1, v32
	v_and_b32_e32 v32, 0x7f, v32
	v_lshlrev_b32_sdwa v40, v30, v24 dst_sel:DWORD dst_unused:UNUSED_PAD src0_sel:DWORD src1_sel:BYTE_0
	v_add_u16_sdwa v24, v32, v25 dst_sel:DWORD dst_unused:UNUSED_PAD src0_sel:DWORD src1_sel:BYTE_1
	global_load_dword v41, v40, s[8:9]
	v_lshrrev_b16_e32 v42, 3, v24
	v_mul_lo_u16_e32 v24, 11, v42
	v_sub_u16_e32 v24, v31, v24
	v_lshlrev_b32_sdwa v43, v30, v24 dst_sel:DWORD dst_unused:UNUSED_PAD src0_sel:DWORD src1_sel:BYTE_0
	global_load_dword v31, v43, s[8:9]
	v_lshrrev_b32_e32 v24, 16, v19
	s_mov_b32 s4, 0xffff
	s_movk_i32 s10, 0x58
	s_waitcnt lgkmcnt(0)
	; wave barrier
	s_waitcnt vmcnt(5) lgkmcnt(0)
	v_mul_f16_sdwa v25, v19, v16 dst_sel:DWORD dst_unused:UNUSED_PAD src0_sel:DWORD src1_sel:WORD_1
	v_mul_f16_sdwa v30, v24, v16 dst_sel:DWORD dst_unused:UNUSED_PAD src0_sel:DWORD src1_sel:WORD_1
	s_waitcnt vmcnt(4)
	v_pk_mul_f16 v32, v20, v14 op_sel:[0,1]
	v_fma_f16 v44, v24, v16, -v25
	v_fma_f16 v19, v19, v16, v30
	v_pk_fma_f16 v16, v20, v14, v32 op_sel:[0,0,1] op_sel_hi:[1,0,0]
	v_pk_fma_f16 v14, v20, v14, v32 op_sel:[0,0,1] op_sel_hi:[1,0,0] neg_lo:[0,0,1] neg_hi:[0,0,1]
	s_waitcnt vmcnt(3)
	v_pk_mul_f16 v20, v22, v15 op_sel:[0,1]
	s_waitcnt vmcnt(2)
	v_pk_mul_f16 v24, v23, v4 op_sel:[0,1]
	v_bfi_b32 v14, s4, v14, v16
	v_pk_fma_f16 v16, v22, v15, v20 op_sel:[0,0,1] op_sel_hi:[1,0,0]
	v_pk_fma_f16 v15, v22, v15, v20 op_sel:[0,0,1] op_sel_hi:[1,0,0] neg_lo:[0,0,1] neg_hi:[0,0,1]
	v_pk_fma_f16 v20, v23, v4, v24 op_sel:[0,0,1] op_sel_hi:[1,0,0]
	v_pk_fma_f16 v4, v23, v4, v24 op_sel:[0,0,1] op_sel_hi:[1,0,0] neg_lo:[0,0,1] neg_hi:[0,0,1]
	v_pk_add_f16 v24, v18, v14 neg_lo:[0,1] neg_hi:[0,1]
	v_bfi_b32 v14, s4, v15, v16
	v_bfi_b32 v4, s4, v4, v20
	v_pk_add_f16 v22, v6, v14 neg_lo:[0,1] neg_hi:[0,1]
	v_pk_add_f16 v14, v7, v4 neg_lo:[0,1] neg_hi:[0,1]
	s_waitcnt vmcnt(1)
	v_pk_mul_f16 v4, v41, v5 op_sel:[0,1]
	v_pk_fma_f16 v25, v6, 2.0, v22 op_sel_hi:[1,0,1] neg_lo:[0,0,1] neg_hi:[0,0,1]
	v_pk_fma_f16 v6, v41, v5, v4 op_sel:[0,0,1] op_sel_hi:[1,0,0]
	v_pk_fma_f16 v4, v41, v5, v4 op_sel:[0,0,1] op_sel_hi:[1,0,0] neg_lo:[0,0,1] neg_hi:[0,0,1]
	v_sub_f16_e32 v20, v0, v44
	v_bfi_b32 v4, s4, v4, v6
	v_pk_add_f16 v16, v2, v4 neg_lo:[0,1] neg_hi:[0,1]
	v_pk_fma_f16 v30, v18, 2.0, v24 op_sel_hi:[1,0,1] neg_lo:[0,0,1] neg_hi:[0,0,1]
	v_pk_fma_f16 v15, v2, 2.0, v16 op_sel_hi:[1,0,1] neg_lo:[0,0,1] neg_hi:[0,0,1]
	s_waitcnt vmcnt(0)
	v_pk_mul_f16 v2, v31, v17 op_sel:[0,1]
	v_pk_fma_f16 v23, v7, 2.0, v14 op_sel_hi:[1,0,1] neg_lo:[0,0,1] neg_hi:[0,0,1]
	v_pk_fma_f16 v4, v31, v17, v2 op_sel:[0,0,1] op_sel_hi:[1,0,0]
	v_pk_fma_f16 v2, v31, v17, v2 op_sel:[0,0,1] op_sel_hi:[1,0,0] neg_lo:[0,0,1] neg_hi:[0,0,1]
	v_sub_f16_e32 v31, v26, v19
	v_fma_f16 v19, v0, 2.0, -v20
	v_mad_u32_u24 v0, v33, s10, 0
	v_add3_u32 v0, v0, v36, v21
	ds_write2_b32 v0, v30, v24 offset1:11
	v_mad_u32_u24 v0, v34, s10, 0
	v_add3_u32 v0, v0, v37, v21
	ds_write2_b32 v0, v25, v22 offset1:11
	;; [unrolled: 3-line block ×3, first 2 shown]
	v_mad_u32_u24 v0, v39, s10, 0
	v_bfi_b32 v2, s4, v2, v4
	v_add3_u32 v0, v0, v40, v21
	v_pk_add_f16 v18, v3, v2 neg_lo:[0,1] neg_hi:[0,1]
	ds_write2_b32 v0, v15, v16 offset1:11
	v_mad_u32_u24 v0, v42, s10, 0
	v_pk_fma_f16 v17, v3, 2.0, v18 op_sel_hi:[1,0,1] neg_lo:[0,0,1] neg_hi:[0,0,1]
	v_fma_f16 v32, v26, 2.0, -v31
	v_add3_u32 v0, v0, v43, v21
	ds_write2_b32 v0, v17, v18 offset1:11
	s_and_saveexec_b64 s[4:5], s[0:1]
	s_cbranch_execz .LBB0_25
; %bb.24:
	v_mad_u32_u24 v0, v1, s10, 0
	s_mov_b32 s0, 0x5040100
	v_add3_u32 v0, v0, v27, v21
	v_perm_b32 v1, v32, v19, s0
	v_perm_b32 v2, v31, v20, s0
	ds_write2_b32 v0, v1, v2 offset1:11
.LBB0_25:
	s_or_b64 exec, exec, s[4:5]
	v_cmp_gt_u32_e64 s[0:1], 22, v12
	s_waitcnt lgkmcnt(0)
	; wave barrier
	s_waitcnt lgkmcnt(0)
                                        ; implicit-def: $vgpr33
                                        ; implicit-def: $vgpr35
                                        ; implicit-def: $vgpr26
                                        ; implicit-def: $vgpr37
                                        ; implicit-def: $vgpr36
                                        ; implicit-def: $vgpr34
	s_and_saveexec_b64 s[4:5], s[0:1]
	s_cbranch_execz .LBB0_27
; %bb.26:
	v_add_u32_e32 v0, 0x200, v13
	ds_read2_b32 v[18:19], v13 offset0:198 offset1:220
	ds_read2_b32 v[24:25], v13 offset0:22 offset1:44
	;; [unrolled: 1-line block ×6, first 2 shown]
	v_add_u32_e32 v0, 0x400, v13
	ds_read2_b32 v[26:27], v0 offset0:30 offset1:52
	ds_read_b32 v30, v29
	ds_read_b32 v34, v13 offset:1320
	s_waitcnt lgkmcnt(8)
	v_lshrrev_b32_e32 v32, 16, v19
	s_waitcnt lgkmcnt(3)
	v_lshrrev_b32_e32 v31, 16, v20
	v_lshrrev_b32_e32 v33, 16, v21
	s_waitcnt lgkmcnt(2)
	v_lshrrev_b32_e32 v35, 16, v26
	;; [unrolled: 3-line block ×3, first 2 shown]
.LBB0_27:
	s_or_b64 exec, exec, s[4:5]
	s_waitcnt lgkmcnt(0)
	; wave barrier
	s_waitcnt lgkmcnt(0)
	s_and_saveexec_b64 s[4:5], s[0:1]
	s_cbranch_execz .LBB0_29
; %bb.28:
	v_subrev_u32_e32 v0, 22, v12
	v_cndmask_b32_e64 v0, v0, v12, s[0:1]
	v_mul_i32_i24_e32 v0, 15, v0
	v_mov_b32_e32 v1, 0
	v_lshl_add_u64 v[46:47], v[0:1], 2, s[8:9]
	global_load_dwordx4 v[38:41], v[46:47], off offset:44
	global_load_dwordx4 v[0:3], v[46:47], off offset:60
	;; [unrolled: 1-line block ×3, first 2 shown]
	global_load_dwordx3 v[42:44], v[46:47], off offset:92
	v_lshrrev_b32_e32 v47, 16, v25
	v_lshrrev_b32_e32 v49, 16, v24
	;; [unrolled: 1-line block ×7, first 2 shown]
	s_movk_i32 s0, 0x39a8
	s_mov_b32 s1, 0xb9a8
	s_mov_b32 s8, 0xb61f
	s_mov_b32 s9, 0xbb64
	s_movk_i32 s10, 0x3b64
	s_movk_i32 s11, 0x361f
	s_waitcnt vmcnt(3)
	v_mul_f16_sdwa v53, v47, v39 dst_sel:DWORD dst_unused:UNUSED_PAD src0_sel:DWORD src1_sel:WORD_1
	v_mul_f16_sdwa v55, v49, v38 dst_sel:DWORD dst_unused:UNUSED_PAD src0_sel:DWORD src1_sel:WORD_1
	;; [unrolled: 1-line block ×5, first 2 shown]
	v_fma_f16 v25, v25, v39, -v53
	v_fma_f16 v53, v24, v38, -v55
	v_mul_f16_sdwa v55, v46, v41 dst_sel:DWORD dst_unused:UNUSED_PAD src0_sel:DWORD src1_sel:WORD_1
	v_fma_f16 v56, v22, v40, -v56
	v_fma_f16 v23, v23, v41, -v55
	v_mul_f16_sdwa v22, v22, v40 dst_sel:DWORD dst_unused:UNUSED_PAD src0_sel:DWORD src1_sel:WORD_1
	v_fma_f16 v39, v47, v39, v54
	v_fma_f16 v41, v46, v41, v52
	s_waitcnt vmcnt(0)
	v_mul_f16_sdwa v52, v37, v43 dst_sel:DWORD dst_unused:UNUSED_PAD src0_sel:DWORD src1_sel:WORD_1
	v_mul_f16_sdwa v54, v35, v42 dst_sel:DWORD dst_unused:UNUSED_PAD src0_sel:DWORD src1_sel:WORD_1
	v_fma_f16 v22, v51, v40, v22
	v_mul_f16_sdwa v51, v27, v43 dst_sel:DWORD dst_unused:UNUSED_PAD src0_sel:DWORD src1_sel:WORD_1
	v_fma_f16 v27, v27, v43, -v52
	v_fma_f16 v52, v26, v42, -v54
	v_mul_f16_sdwa v26, v26, v42 dst_sel:DWORD dst_unused:UNUSED_PAD src0_sel:DWORD src1_sel:WORD_1
	v_mul_f16_sdwa v24, v24, v38 dst_sel:DWORD dst_unused:UNUSED_PAD src0_sel:DWORD src1_sel:WORD_1
	v_fma_f16 v26, v35, v42, v26
	v_mul_f16_sdwa v35, v34, v44 dst_sel:DWORD dst_unused:UNUSED_PAD src0_sel:DWORD src1_sel:WORD_1
	v_fma_f16 v24, v49, v38, v24
	;; [unrolled: 2-line block ×3, first 2 shown]
	v_mul_f16_sdwa v36, v36, v44 dst_sel:DWORD dst_unused:UNUSED_PAD src0_sel:DWORD src1_sel:WORD_1
	v_lshrrev_b32_e32 v55, 16, v14
	v_lshrrev_b32_e32 v47, 16, v16
	v_mul_f16_sdwa v46, v45, v3 dst_sel:DWORD dst_unused:UNUSED_PAD src0_sel:DWORD src1_sel:WORD_1
	v_mul_f16_sdwa v40, v21, v7 dst_sel:DWORD dst_unused:UNUSED_PAD src0_sel:DWORD src1_sel:WORD_1
	v_mul_f16_sdwa v38, v32, v5 dst_sel:DWORD dst_unused:UNUSED_PAD src0_sel:DWORD src1_sel:WORD_1
	v_mul_f16_sdwa v54, v19, v5 dst_sel:DWORD dst_unused:UNUSED_PAD src0_sel:DWORD src1_sel:WORD_1
	v_fma_f16 v37, v37, v43, v51
	v_mul_f16_sdwa v43, v48, v1 dst_sel:DWORD dst_unused:UNUSED_PAD src0_sel:DWORD src1_sel:WORD_1
	v_fma_f16 v34, v34, v44, -v36
	v_mul_f16_sdwa v36, v50, v4 dst_sel:DWORD dst_unused:UNUSED_PAD src0_sel:DWORD src1_sel:WORD_1
	v_mul_f16_sdwa v42, v14, v0 dst_sel:DWORD dst_unused:UNUSED_PAD src0_sel:DWORD src1_sel:WORD_1
	;; [unrolled: 1-line block ×4, first 2 shown]
	v_fma_f16 v48, v48, v1, v49
	v_mul_f16_sdwa v49, v20, v6 dst_sel:DWORD dst_unused:UNUSED_PAD src0_sel:DWORD src1_sel:WORD_1
	v_fma_f16 v32, v32, v5, v54
	v_mul_f16_sdwa v54, v47, v2 dst_sel:DWORD dst_unused:UNUSED_PAD src0_sel:DWORD src1_sel:WORD_1
	;; [unrolled: 2-line block ×3, first 2 shown]
	v_fma_f16 v46, v17, v3, -v46
	v_fma_f16 v33, v33, v7, v40
	v_fma_f16 v5, v19, v5, -v38
	v_fma_f16 v1, v15, v1, -v43
	;; [unrolled: 1-line block ×3, first 2 shown]
	v_fma_f16 v19, v55, v0, v42
	v_fma_f16 v20, v20, v6, -v44
	v_fma_f16 v6, v31, v6, v49
	v_mul_f16_sdwa v18, v18, v4 dst_sel:DWORD dst_unused:UNUSED_PAD src0_sel:DWORD src1_sel:WORD_1
	v_mul_f16_sdwa v49, v55, v0 dst_sel:DWORD dst_unused:UNUSED_PAD src0_sel:DWORD src1_sel:WORD_1
	;; [unrolled: 1-line block ×3, first 2 shown]
	v_fma_f16 v7, v21, v7, -v51
	v_sub_f16_e32 v21, v30, v46
	v_sub_f16_e32 v31, v41, v33
	;; [unrolled: 1-line block ×8, first 2 shown]
	v_fma_f16 v4, v50, v4, v18
	v_fma_f16 v2, v16, v2, -v54
	v_fma_f16 v0, v14, v0, -v49
	v_fma_f16 v3, v45, v3, v17
	v_lshrrev_b32_e32 v45, 16, v30
	v_sub_f16_e32 v32, v39, v32
	v_sub_f16_e32 v27, v1, v27
	v_sub_f16_e32 v6, v22, v6
	v_sub_f16_e32 v36, v21, v31
	v_sub_f16_e32 v37, v5, v33
	v_sub_f16_e32 v40, v15, v26
	v_sub_f16_e32 v42, v20, v35
	v_sub_f16_e32 v16, v2, v34
	v_sub_f16_e32 v4, v24, v4
	v_sub_f16_e32 v49, v0, v52
	v_sub_f16_e32 v3, v45, v3
	v_sub_f16_e32 v7, v23, v7
	v_add_f16_e32 v38, v32, v27
	v_fma_f16 v18, v37, s0, v36
	v_fma_f16 v43, v42, s0, v40
	v_add_f16_e32 v34, v6, v16
	v_add_f16_e32 v50, v4, v49
	;; [unrolled: 1-line block ×3, first 2 shown]
	v_fma_f16 v18, v38, s1, v18
	v_fma_f16 v43, v34, s1, v43
	;; [unrolled: 1-line block ×4, first 2 shown]
	v_fma_f16 v44, v36, 2.0, -v18
	v_fma_f16 v46, v40, 2.0, -v43
	v_fma_f16 v51, v42, s0, v51
	v_fma_f16 v54, v37, s0, v54
	;; [unrolled: 1-line block ×3, first 2 shown]
	v_fma_f16 v17, v50, 2.0, -v51
	v_fma_f16 v55, v52, 2.0, -v54
	v_fma_f16 v14, v17, s9, v14
	v_fma_f16 v17, v17, s8, v55
	v_fma_f16 v40, v15, 2.0, -v40
	v_fma_f16 v42, v20, 2.0, -v42
	v_fma_f16 v17, v46, s10, v17
	v_fma_f16 v46, v42, s1, v40
	v_fma_f16 v34, v6, 2.0, -v34
	v_fma_f16 v50, v4, 2.0, -v50
	v_fma_f16 v36, v21, 2.0, -v36
	v_fma_f16 v37, v5, 2.0, -v37
	v_fma_f16 v46, v34, s1, v46
	v_fma_f16 v34, v34, s1, v50
	v_fma_f16 v38, v32, 2.0, -v38
	v_fma_f16 v52, v3, 2.0, -v52
	;; [unrolled: 1-line block ×18, first 2 shown]
	v_fma_f16 v34, v42, s0, v34
	v_fma_f16 v42, v37, s1, v36
	v_sub_f16_e32 v7, v21, v7
	v_sub_f16_e32 v32, v23, v32
	;; [unrolled: 1-line block ×8, first 2 shown]
	v_fma_f16 v42, v38, s1, v42
	v_fma_f16 v38, v38, s1, v52
	v_sub_f16_e32 v33, v7, v32
	v_sub_f16_e32 v35, v0, v22
	v_add_f16_e32 v16, v19, v2
	v_add_f16_e32 v25, v26, v1
	v_fma_f16 v37, v37, s0, v38
	v_fma_f16 v38, v43, s10, v18
	;; [unrolled: 1-line block ×4, first 2 shown]
	v_fma_f16 v41, v7, 2.0, -v33
	v_fma_f16 v7, v21, 2.0, -v7
	;; [unrolled: 1-line block ×5, first 2 shown]
	v_fma_f16 v38, v51, s8, v38
	v_fma_f16 v51, v51, s10, v54
	;; [unrolled: 1-line block ×5, first 2 shown]
	v_fma_f16 v35, v0, 2.0, -v35
	v_fma_f16 v16, v19, 2.0, -v16
	v_sub_f16_e32 v1, v7, v1
	v_sub_f16_e32 v5, v4, v5
	v_fma_f16 v3, v3, 2.0, -v26
	v_fma_f16 v19, v23, 2.0, -v32
	;; [unrolled: 1-line block ×4, first 2 shown]
	v_fma_f16 v43, v43, s11, v51
	v_fma_f16 v51, v46, s11, v42
	;; [unrolled: 1-line block ×3, first 2 shown]
	v_fma_f16 v47, v26, 2.0, -v25
	v_sub_f16_e32 v6, v1, v5
	v_sub_f16_e32 v19, v3, v19
	;; [unrolled: 1-line block ×3, first 2 shown]
	v_fma_f16 v26, v36, 2.0, -v42
	v_fma_f16 v32, v40, 2.0, -v46
	v_fma_f16 v51, v34, s9, v51
	v_fma_f16 v39, v37, 2.0, -v30
	v_fma_f16 v45, v35, s1, v41
	v_add_f16_e32 v15, v19, v2
	v_fma_f16 v22, v1, 2.0, -v6
	v_fma_f16 v36, v32, s9, v26
	v_fma_f16 v34, v50, 2.0, -v34
	v_fma_f16 v37, v52, 2.0, -v37
	;; [unrolled: 1-line block ×6, first 2 shown]
	v_fma_f16 v45, v16, s1, v45
	v_fma_f16 v16, v16, s1, v47
	;; [unrolled: 1-line block ×4, first 2 shown]
	v_sub_f16_e32 v0, v1, v0
	v_sub_f16_e32 v3, v2, v3
	v_fma_f16 v16, v35, s0, v16
	v_fma_f16 v32, v32, s11, v34
	v_fma_f16 v1, v1, 2.0, -v0
	v_fma_f16 v2, v2, 2.0, -v3
	;; [unrolled: 1-line block ×6, first 2 shown]
	v_pack_b32_f16 v1, v1, v2
	v_fma_f16 v35, v44, 2.0, -v14
	v_fma_f16 v44, v55, 2.0, -v17
	;; [unrolled: 1-line block ×3, first 2 shown]
	ds_write_b32 v29, v1
	v_pack_b32_f16 v1, v26, v34
	v_pack_b32_f16 v2, v20, v21
	v_fma_f16 v31, v42, 2.0, -v51
	v_fma_f16 v4, v33, 2.0, -v24
	;; [unrolled: 1-line block ×3, first 2 shown]
	ds_write2_b32 v13, v1, v2 offset0:22 offset1:44
	v_pack_b32_f16 v1, v35, v44
	v_pack_b32_f16 v2, v22, v23
	v_fma_f16 v18, v18, 2.0, -v38
	v_fma_f16 v54, v54, 2.0, -v43
	ds_write2_b32 v13, v1, v2 offset0:66 offset1:88
	v_pack_b32_f16 v1, v31, v39
	v_pack_b32_f16 v2, v4, v5
	ds_write2_b32 v13, v1, v2 offset0:110 offset1:132
	v_pack_b32_f16 v1, v18, v54
	v_pack_b32_f16 v0, v0, v3
	;; [unrolled: 3-line block ×4, first 2 shown]
	v_add_u32_e32 v2, 0x200, v13
	ds_write2_b32 v2, v0, v1 offset0:114 offset1:136
	v_pack_b32_f16 v0, v51, v30
	v_pack_b32_f16 v1, v24, v27
	v_add_u32_e32 v2, 0x400, v13
	ds_write2_b32 v2, v0, v1 offset0:30 offset1:52
	v_pack_b32_f16 v0, v38, v43
	ds_write_b32 v13, v0 offset:1320
.LBB0_29:
	s_or_b64 exec, exec, s[4:5]
	s_waitcnt lgkmcnt(0)
	; wave barrier
	s_waitcnt lgkmcnt(0)
	s_and_saveexec_b64 s[0:1], vcc
	s_cbranch_execz .LBB0_31
; %bb.30:
	v_mul_lo_u32 v2, s3, v10
	v_mul_lo_u32 v3, s2, v11
	v_mad_u64_u32 v[0:1], s[0:1], s2, v10, 0
	v_lshl_add_u32 v10, v12, 2, v28
	v_add3_u32 v1, v1, v3, v2
	ds_read2_b32 v[2:3], v10 offset1:32
	v_lshl_add_u64 v[0:1], v[0:1], 2, s[6:7]
	v_mov_b32_e32 v13, 0
	v_lshl_add_u64 v[0:1], v[8:9], 2, v[0:1]
	v_lshl_add_u64 v[4:5], v[12:13], 2, v[0:1]
	ds_read2_b32 v[6:7], v10 offset0:64 offset1:96
	s_waitcnt lgkmcnt(1)
	global_store_dword v[4:5], v2, off
	v_add_u32_e32 v4, 32, v12
	v_mov_b32_e32 v5, v13
	v_lshl_add_u64 v[4:5], v[4:5], 2, v[0:1]
	global_store_dword v[4:5], v3, off
	v_add_u32_e32 v2, 64, v12
	v_mov_b32_e32 v3, v13
	v_lshl_add_u64 v[2:3], v[2:3], 2, v[0:1]
	ds_read2_b32 v[4:5], v10 offset0:128 offset1:160
	s_waitcnt lgkmcnt(1)
	global_store_dword v[2:3], v6, off
	v_add_u32_e32 v2, 0x60, v12
	v_mov_b32_e32 v3, v13
	v_lshl_add_u64 v[2:3], v[2:3], 2, v[0:1]
	global_store_dword v[2:3], v7, off
	v_add_u32_e32 v2, 0x80, v12
	v_mov_b32_e32 v3, v13
	;; [unrolled: 10-line block ×3, first 2 shown]
	v_add_u32_e32 v4, 0x400, v10
	v_lshl_add_u64 v[2:3], v[2:3], 2, v[0:1]
	ds_read2_b32 v[4:5], v4 offset1:32
	s_waitcnt lgkmcnt(1)
	global_store_dword v[2:3], v6, off
	v_add_u32_e32 v2, 0xe0, v12
	v_mov_b32_e32 v3, v13
	v_lshl_add_u64 v[2:3], v[2:3], 2, v[0:1]
	global_store_dword v[2:3], v7, off
	v_add_u32_e32 v2, 0x100, v12
	v_mov_b32_e32 v3, v13
	v_lshl_add_u64 v[2:3], v[2:3], 2, v[0:1]
	s_waitcnt lgkmcnt(0)
	global_store_dword v[2:3], v4, off
	ds_read_b32 v4, v10 offset:1280
	v_add_u32_e32 v2, 0x120, v12
	v_mov_b32_e32 v3, v13
	v_add_u32_e32 v12, 0x140, v12
	v_lshl_add_u64 v[2:3], v[2:3], 2, v[0:1]
	v_lshl_add_u64 v[0:1], v[12:13], 2, v[0:1]
	global_store_dword v[2:3], v5, off
	s_waitcnt lgkmcnt(0)
	global_store_dword v[0:1], v4, off
.LBB0_31:
	s_endpgm
	.section	.rodata,"a",@progbits
	.p2align	6, 0x0
	.amdhsa_kernel fft_rtc_fwd_len352_factors_11_2_16_wgs_64_tpt_32_half_op_CI_CI_unitstride_sbrr_C2R_dirReg
		.amdhsa_group_segment_fixed_size 0
		.amdhsa_private_segment_fixed_size 0
		.amdhsa_kernarg_size 104
		.amdhsa_user_sgpr_count 2
		.amdhsa_user_sgpr_dispatch_ptr 0
		.amdhsa_user_sgpr_queue_ptr 0
		.amdhsa_user_sgpr_kernarg_segment_ptr 1
		.amdhsa_user_sgpr_dispatch_id 0
		.amdhsa_user_sgpr_kernarg_preload_length 0
		.amdhsa_user_sgpr_kernarg_preload_offset 0
		.amdhsa_user_sgpr_private_segment_size 0
		.amdhsa_uses_dynamic_stack 0
		.amdhsa_enable_private_segment 0
		.amdhsa_system_sgpr_workgroup_id_x 1
		.amdhsa_system_sgpr_workgroup_id_y 0
		.amdhsa_system_sgpr_workgroup_id_z 0
		.amdhsa_system_sgpr_workgroup_info 0
		.amdhsa_system_vgpr_workitem_id 0
		.amdhsa_next_free_vgpr 57
		.amdhsa_next_free_sgpr 28
		.amdhsa_accum_offset 60
		.amdhsa_reserve_vcc 1
		.amdhsa_float_round_mode_32 0
		.amdhsa_float_round_mode_16_64 0
		.amdhsa_float_denorm_mode_32 3
		.amdhsa_float_denorm_mode_16_64 3
		.amdhsa_dx10_clamp 1
		.amdhsa_ieee_mode 1
		.amdhsa_fp16_overflow 0
		.amdhsa_tg_split 0
		.amdhsa_exception_fp_ieee_invalid_op 0
		.amdhsa_exception_fp_denorm_src 0
		.amdhsa_exception_fp_ieee_div_zero 0
		.amdhsa_exception_fp_ieee_overflow 0
		.amdhsa_exception_fp_ieee_underflow 0
		.amdhsa_exception_fp_ieee_inexact 0
		.amdhsa_exception_int_div_zero 0
	.end_amdhsa_kernel
	.text
.Lfunc_end0:
	.size	fft_rtc_fwd_len352_factors_11_2_16_wgs_64_tpt_32_half_op_CI_CI_unitstride_sbrr_C2R_dirReg, .Lfunc_end0-fft_rtc_fwd_len352_factors_11_2_16_wgs_64_tpt_32_half_op_CI_CI_unitstride_sbrr_C2R_dirReg
                                        ; -- End function
	.section	.AMDGPU.csdata,"",@progbits
; Kernel info:
; codeLenInByte = 8412
; NumSgprs: 34
; NumVgprs: 57
; NumAgprs: 0
; TotalNumVgprs: 57
; ScratchSize: 0
; MemoryBound: 0
; FloatMode: 240
; IeeeMode: 1
; LDSByteSize: 0 bytes/workgroup (compile time only)
; SGPRBlocks: 4
; VGPRBlocks: 7
; NumSGPRsForWavesPerEU: 34
; NumVGPRsForWavesPerEU: 57
; AccumOffset: 60
; Occupancy: 8
; WaveLimiterHint : 1
; COMPUTE_PGM_RSRC2:SCRATCH_EN: 0
; COMPUTE_PGM_RSRC2:USER_SGPR: 2
; COMPUTE_PGM_RSRC2:TRAP_HANDLER: 0
; COMPUTE_PGM_RSRC2:TGID_X_EN: 1
; COMPUTE_PGM_RSRC2:TGID_Y_EN: 0
; COMPUTE_PGM_RSRC2:TGID_Z_EN: 0
; COMPUTE_PGM_RSRC2:TIDIG_COMP_CNT: 0
; COMPUTE_PGM_RSRC3_GFX90A:ACCUM_OFFSET: 14
; COMPUTE_PGM_RSRC3_GFX90A:TG_SPLIT: 0
	.text
	.p2alignl 6, 3212836864
	.fill 256, 4, 3212836864
	.type	__hip_cuid_245701e5611eb17d,@object ; @__hip_cuid_245701e5611eb17d
	.section	.bss,"aw",@nobits
	.globl	__hip_cuid_245701e5611eb17d
__hip_cuid_245701e5611eb17d:
	.byte	0                               ; 0x0
	.size	__hip_cuid_245701e5611eb17d, 1

	.ident	"AMD clang version 19.0.0git (https://github.com/RadeonOpenCompute/llvm-project roc-6.4.0 25133 c7fe45cf4b819c5991fe208aaa96edf142730f1d)"
	.section	".note.GNU-stack","",@progbits
	.addrsig
	.addrsig_sym __hip_cuid_245701e5611eb17d
	.amdgpu_metadata
---
amdhsa.kernels:
  - .agpr_count:     0
    .args:
      - .actual_access:  read_only
        .address_space:  global
        .offset:         0
        .size:           8
        .value_kind:     global_buffer
      - .offset:         8
        .size:           8
        .value_kind:     by_value
      - .actual_access:  read_only
        .address_space:  global
        .offset:         16
        .size:           8
        .value_kind:     global_buffer
      - .actual_access:  read_only
        .address_space:  global
        .offset:         24
        .size:           8
        .value_kind:     global_buffer
      - .actual_access:  read_only
        .address_space:  global
        .offset:         32
        .size:           8
        .value_kind:     global_buffer
      - .offset:         40
        .size:           8
        .value_kind:     by_value
      - .actual_access:  read_only
        .address_space:  global
        .offset:         48
        .size:           8
        .value_kind:     global_buffer
      - .actual_access:  read_only
        .address_space:  global
        .offset:         56
        .size:           8
        .value_kind:     global_buffer
      - .offset:         64
        .size:           4
        .value_kind:     by_value
      - .actual_access:  read_only
        .address_space:  global
        .offset:         72
        .size:           8
        .value_kind:     global_buffer
      - .actual_access:  read_only
        .address_space:  global
        .offset:         80
        .size:           8
        .value_kind:     global_buffer
      - .actual_access:  read_only
        .address_space:  global
        .offset:         88
        .size:           8
        .value_kind:     global_buffer
      - .actual_access:  write_only
        .address_space:  global
        .offset:         96
        .size:           8
        .value_kind:     global_buffer
    .group_segment_fixed_size: 0
    .kernarg_segment_align: 8
    .kernarg_segment_size: 104
    .language:       OpenCL C
    .language_version:
      - 2
      - 0
    .max_flat_workgroup_size: 64
    .name:           fft_rtc_fwd_len352_factors_11_2_16_wgs_64_tpt_32_half_op_CI_CI_unitstride_sbrr_C2R_dirReg
    .private_segment_fixed_size: 0
    .sgpr_count:     34
    .sgpr_spill_count: 0
    .symbol:         fft_rtc_fwd_len352_factors_11_2_16_wgs_64_tpt_32_half_op_CI_CI_unitstride_sbrr_C2R_dirReg.kd
    .uniform_work_group_size: 1
    .uses_dynamic_stack: false
    .vgpr_count:     57
    .vgpr_spill_count: 0
    .wavefront_size: 64
amdhsa.target:   amdgcn-amd-amdhsa--gfx950
amdhsa.version:
  - 1
  - 2
...

	.end_amdgpu_metadata
